;; amdgpu-corpus repo=ROCm/rocFFT kind=compiled arch=gfx906 opt=O3
	.text
	.amdgcn_target "amdgcn-amd-amdhsa--gfx906"
	.amdhsa_code_object_version 6
	.protected	fft_rtc_fwd_len1792_factors_4_4_4_4_7_wgs_224_tpt_224_halfLds_dp_op_CI_CI_unitstride_sbrr_C2R_dirReg ; -- Begin function fft_rtc_fwd_len1792_factors_4_4_4_4_7_wgs_224_tpt_224_halfLds_dp_op_CI_CI_unitstride_sbrr_C2R_dirReg
	.globl	fft_rtc_fwd_len1792_factors_4_4_4_4_7_wgs_224_tpt_224_halfLds_dp_op_CI_CI_unitstride_sbrr_C2R_dirReg
	.p2align	8
	.type	fft_rtc_fwd_len1792_factors_4_4_4_4_7_wgs_224_tpt_224_halfLds_dp_op_CI_CI_unitstride_sbrr_C2R_dirReg,@function
fft_rtc_fwd_len1792_factors_4_4_4_4_7_wgs_224_tpt_224_halfLds_dp_op_CI_CI_unitstride_sbrr_C2R_dirReg: ; @fft_rtc_fwd_len1792_factors_4_4_4_4_7_wgs_224_tpt_224_halfLds_dp_op_CI_CI_unitstride_sbrr_C2R_dirReg
; %bb.0:
	s_load_dwordx4 s[8:11], s[4:5], 0x58
	s_load_dwordx4 s[12:15], s[4:5], 0x0
	;; [unrolled: 1-line block ×3, first 2 shown]
	v_mul_u32_u24_e32 v1, 0x125, v0
	v_add_u32_sdwa v5, s6, v1 dst_sel:DWORD dst_unused:UNUSED_PAD src0_sel:DWORD src1_sel:WORD_1
	v_mov_b32_e32 v3, 0
	s_waitcnt lgkmcnt(0)
	v_cmp_lt_u64_e64 s[0:1], s[14:15], 2
	v_mov_b32_e32 v1, 0
	v_mov_b32_e32 v6, v3
	s_and_b64 vcc, exec, s[0:1]
	v_mov_b32_e32 v2, 0
	s_cbranch_vccnz .LBB0_8
; %bb.1:
	s_load_dwordx2 s[0:1], s[4:5], 0x10
	s_add_u32 s2, s18, 8
	s_addc_u32 s3, s19, 0
	s_add_u32 s6, s16, 8
	v_mov_b32_e32 v1, 0
	s_addc_u32 s7, s17, 0
	v_mov_b32_e32 v2, 0
	s_waitcnt lgkmcnt(0)
	s_add_u32 s20, s0, 8
	v_mov_b32_e32 v57, v2
	s_addc_u32 s21, s1, 0
	s_mov_b64 s[22:23], 1
	v_mov_b32_e32 v56, v1
.LBB0_2:                                ; =>This Inner Loop Header: Depth=1
	s_load_dwordx2 s[24:25], s[20:21], 0x0
                                        ; implicit-def: $vgpr58_vgpr59
	s_waitcnt lgkmcnt(0)
	v_or_b32_e32 v4, s25, v6
	v_cmp_ne_u64_e32 vcc, 0, v[3:4]
	s_and_saveexec_b64 s[0:1], vcc
	s_xor_b64 s[26:27], exec, s[0:1]
	s_cbranch_execz .LBB0_4
; %bb.3:                                ;   in Loop: Header=BB0_2 Depth=1
	v_cvt_f32_u32_e32 v4, s24
	v_cvt_f32_u32_e32 v7, s25
	s_sub_u32 s0, 0, s24
	s_subb_u32 s1, 0, s25
	v_mac_f32_e32 v4, 0x4f800000, v7
	v_rcp_f32_e32 v4, v4
	v_mul_f32_e32 v4, 0x5f7ffffc, v4
	v_mul_f32_e32 v7, 0x2f800000, v4
	v_trunc_f32_e32 v7, v7
	v_mac_f32_e32 v4, 0xcf800000, v7
	v_cvt_u32_f32_e32 v7, v7
	v_cvt_u32_f32_e32 v4, v4
	v_mul_lo_u32 v8, s0, v7
	v_mul_hi_u32 v9, s0, v4
	v_mul_lo_u32 v11, s1, v4
	v_mul_lo_u32 v10, s0, v4
	v_add_u32_e32 v8, v9, v8
	v_add_u32_e32 v8, v8, v11
	v_mul_hi_u32 v9, v4, v10
	v_mul_lo_u32 v11, v4, v8
	v_mul_hi_u32 v13, v4, v8
	v_mul_hi_u32 v12, v7, v10
	v_mul_lo_u32 v10, v7, v10
	v_mul_hi_u32 v14, v7, v8
	v_add_co_u32_e32 v9, vcc, v9, v11
	v_addc_co_u32_e32 v11, vcc, 0, v13, vcc
	v_mul_lo_u32 v8, v7, v8
	v_add_co_u32_e32 v9, vcc, v9, v10
	v_addc_co_u32_e32 v9, vcc, v11, v12, vcc
	v_addc_co_u32_e32 v10, vcc, 0, v14, vcc
	v_add_co_u32_e32 v8, vcc, v9, v8
	v_addc_co_u32_e32 v9, vcc, 0, v10, vcc
	v_add_co_u32_e32 v4, vcc, v4, v8
	v_addc_co_u32_e32 v7, vcc, v7, v9, vcc
	v_mul_lo_u32 v8, s0, v7
	v_mul_hi_u32 v9, s0, v4
	v_mul_lo_u32 v10, s1, v4
	v_mul_lo_u32 v11, s0, v4
	v_add_u32_e32 v8, v9, v8
	v_add_u32_e32 v8, v8, v10
	v_mul_lo_u32 v12, v4, v8
	v_mul_hi_u32 v13, v4, v11
	v_mul_hi_u32 v14, v4, v8
	v_mul_hi_u32 v10, v7, v11
	v_mul_lo_u32 v11, v7, v11
	v_mul_hi_u32 v9, v7, v8
	v_add_co_u32_e32 v12, vcc, v13, v12
	v_addc_co_u32_e32 v13, vcc, 0, v14, vcc
	v_mul_lo_u32 v8, v7, v8
	v_add_co_u32_e32 v11, vcc, v12, v11
	v_addc_co_u32_e32 v10, vcc, v13, v10, vcc
	v_addc_co_u32_e32 v9, vcc, 0, v9, vcc
	v_add_co_u32_e32 v8, vcc, v10, v8
	v_addc_co_u32_e32 v9, vcc, 0, v9, vcc
	v_add_co_u32_e32 v4, vcc, v4, v8
	v_addc_co_u32_e32 v9, vcc, v7, v9, vcc
	v_mad_u64_u32 v[7:8], s[0:1], v5, v9, 0
	v_mul_hi_u32 v10, v5, v4
	v_add_co_u32_e32 v11, vcc, v10, v7
	v_addc_co_u32_e32 v12, vcc, 0, v8, vcc
	v_mad_u64_u32 v[7:8], s[0:1], v6, v4, 0
	v_mad_u64_u32 v[9:10], s[0:1], v6, v9, 0
	v_add_co_u32_e32 v4, vcc, v11, v7
	v_addc_co_u32_e32 v4, vcc, v12, v8, vcc
	v_addc_co_u32_e32 v7, vcc, 0, v10, vcc
	v_add_co_u32_e32 v4, vcc, v4, v9
	v_addc_co_u32_e32 v9, vcc, 0, v7, vcc
	v_mul_lo_u32 v10, s25, v4
	v_mul_lo_u32 v11, s24, v9
	v_mad_u64_u32 v[7:8], s[0:1], s24, v4, 0
	v_add3_u32 v8, v8, v11, v10
	v_sub_u32_e32 v10, v6, v8
	v_mov_b32_e32 v11, s25
	v_sub_co_u32_e32 v7, vcc, v5, v7
	v_subb_co_u32_e64 v10, s[0:1], v10, v11, vcc
	v_subrev_co_u32_e64 v11, s[0:1], s24, v7
	v_subbrev_co_u32_e64 v10, s[0:1], 0, v10, s[0:1]
	v_cmp_le_u32_e64 s[0:1], s25, v10
	v_cndmask_b32_e64 v12, 0, -1, s[0:1]
	v_cmp_le_u32_e64 s[0:1], s24, v11
	v_cndmask_b32_e64 v11, 0, -1, s[0:1]
	v_cmp_eq_u32_e64 s[0:1], s25, v10
	v_cndmask_b32_e64 v10, v12, v11, s[0:1]
	v_add_co_u32_e64 v11, s[0:1], 2, v4
	v_addc_co_u32_e64 v12, s[0:1], 0, v9, s[0:1]
	v_add_co_u32_e64 v13, s[0:1], 1, v4
	v_addc_co_u32_e64 v14, s[0:1], 0, v9, s[0:1]
	v_subb_co_u32_e32 v8, vcc, v6, v8, vcc
	v_cmp_ne_u32_e64 s[0:1], 0, v10
	v_cmp_le_u32_e32 vcc, s25, v8
	v_cndmask_b32_e64 v10, v14, v12, s[0:1]
	v_cndmask_b32_e64 v12, 0, -1, vcc
	v_cmp_le_u32_e32 vcc, s24, v7
	v_cndmask_b32_e64 v7, 0, -1, vcc
	v_cmp_eq_u32_e32 vcc, s25, v8
	v_cndmask_b32_e32 v7, v12, v7, vcc
	v_cmp_ne_u32_e32 vcc, 0, v7
	v_cndmask_b32_e64 v7, v13, v11, s[0:1]
	v_cndmask_b32_e32 v59, v9, v10, vcc
	v_cndmask_b32_e32 v58, v4, v7, vcc
.LBB0_4:                                ;   in Loop: Header=BB0_2 Depth=1
	s_andn2_saveexec_b64 s[0:1], s[26:27]
	s_cbranch_execz .LBB0_6
; %bb.5:                                ;   in Loop: Header=BB0_2 Depth=1
	v_cvt_f32_u32_e32 v4, s24
	s_sub_i32 s26, 0, s24
	v_mov_b32_e32 v59, v3
	v_rcp_iflag_f32_e32 v4, v4
	v_mul_f32_e32 v4, 0x4f7ffffe, v4
	v_cvt_u32_f32_e32 v4, v4
	v_mul_lo_u32 v7, s26, v4
	v_mul_hi_u32 v7, v4, v7
	v_add_u32_e32 v4, v4, v7
	v_mul_hi_u32 v4, v5, v4
	v_mul_lo_u32 v7, v4, s24
	v_add_u32_e32 v8, 1, v4
	v_sub_u32_e32 v7, v5, v7
	v_subrev_u32_e32 v9, s24, v7
	v_cmp_le_u32_e32 vcc, s24, v7
	v_cndmask_b32_e32 v7, v7, v9, vcc
	v_cndmask_b32_e32 v4, v4, v8, vcc
	v_add_u32_e32 v8, 1, v4
	v_cmp_le_u32_e32 vcc, s24, v7
	v_cndmask_b32_e32 v58, v4, v8, vcc
.LBB0_6:                                ;   in Loop: Header=BB0_2 Depth=1
	s_or_b64 exec, exec, s[0:1]
	v_mul_lo_u32 v4, v59, s24
	v_mul_lo_u32 v9, v58, s25
	v_mad_u64_u32 v[7:8], s[0:1], v58, s24, 0
	s_load_dwordx2 s[0:1], s[6:7], 0x0
	s_load_dwordx2 s[24:25], s[2:3], 0x0
	v_add3_u32 v4, v8, v9, v4
	v_sub_co_u32_e32 v5, vcc, v5, v7
	v_subb_co_u32_e32 v4, vcc, v6, v4, vcc
	s_waitcnt lgkmcnt(0)
	v_mul_lo_u32 v6, s0, v4
	v_mul_lo_u32 v7, s1, v5
	v_mad_u64_u32 v[1:2], s[0:1], s0, v5, v[1:2]
	v_mul_lo_u32 v4, s24, v4
	v_mul_lo_u32 v8, s25, v5
	v_mad_u64_u32 v[56:57], s[0:1], s24, v5, v[56:57]
	s_add_u32 s22, s22, 1
	s_addc_u32 s23, s23, 0
	s_add_u32 s2, s2, 8
	v_add3_u32 v57, v8, v57, v4
	s_addc_u32 s3, s3, 0
	v_mov_b32_e32 v4, s14
	s_add_u32 s6, s6, 8
	v_mov_b32_e32 v5, s15
	s_addc_u32 s7, s7, 0
	v_cmp_ge_u64_e32 vcc, s[22:23], v[4:5]
	s_add_u32 s20, s20, 8
	v_add3_u32 v2, v7, v2, v6
	s_addc_u32 s21, s21, 0
	s_cbranch_vccnz .LBB0_9
; %bb.7:                                ;   in Loop: Header=BB0_2 Depth=1
	v_mov_b32_e32 v5, v58
	v_mov_b32_e32 v6, v59
	s_branch .LBB0_2
.LBB0_8:
	v_mov_b32_e32 v57, v2
	v_mov_b32_e32 v59, v6
	;; [unrolled: 1-line block ×4, first 2 shown]
.LBB0_9:
	s_load_dwordx2 s[2:3], s[4:5], 0x28
	s_lshl_b64 s[6:7], s[14:15], 3
	s_add_u32 s4, s18, s6
	s_addc_u32 s5, s19, s7
                                        ; implicit-def: $vgpr60
	s_waitcnt lgkmcnt(0)
	v_cmp_gt_u64_e64 s[0:1], s[2:3], v[58:59]
	v_cmp_le_u64_e32 vcc, s[2:3], v[58:59]
	s_and_saveexec_b64 s[2:3], vcc
	s_xor_b64 s[2:3], exec, s[2:3]
; %bb.10:
	s_mov_b32 s14, 0x124924a
	v_mul_hi_u32 v1, v0, s14
	v_mul_u32_u24_e32 v1, 0xe0, v1
	v_sub_u32_e32 v60, v0, v1
                                        ; implicit-def: $vgpr0
                                        ; implicit-def: $vgpr1_vgpr2
; %bb.11:
	s_or_saveexec_b64 s[2:3], s[2:3]
	s_load_dwordx2 s[4:5], s[4:5], 0x0
	s_xor_b64 exec, exec, s[2:3]
	s_cbranch_execz .LBB0_15
; %bb.12:
	s_add_u32 s6, s16, s6
	s_addc_u32 s7, s17, s7
	s_load_dwordx2 s[6:7], s[6:7], 0x0
	s_mov_b32 s14, 0x124924a
	v_mul_hi_u32 v5, v0, s14
	v_lshlrev_b64 v[1:2], 4, v[1:2]
	s_waitcnt lgkmcnt(0)
	v_mul_lo_u32 v6, s7, v58
	v_mul_lo_u32 v7, s6, v59
	v_mad_u64_u32 v[3:4], s[6:7], s6, v58, 0
	v_mul_u32_u24_e32 v5, 0xe0, v5
	v_sub_u32_e32 v60, v0, v5
	v_add3_u32 v4, v4, v7, v6
	v_lshlrev_b64 v[3:4], 4, v[3:4]
	v_mov_b32_e32 v0, s9
	v_add_co_u32_e32 v3, vcc, s8, v3
	v_addc_co_u32_e32 v0, vcc, v0, v4, vcc
	v_add_co_u32_e32 v1, vcc, v3, v1
	v_addc_co_u32_e32 v0, vcc, v0, v2, vcc
	v_lshlrev_b32_e32 v42, 4, v60
	v_add_co_u32_e32 v18, vcc, v1, v42
	v_addc_co_u32_e32 v19, vcc, 0, v0, vcc
	s_movk_i32 s6, 0x1000
	v_add_co_u32_e32 v20, vcc, s6, v18
	v_addc_co_u32_e32 v21, vcc, 0, v19, vcc
	s_movk_i32 s6, 0x2000
	;; [unrolled: 3-line block ×4, first 2 shown]
	v_add_co_u32_e32 v36, vcc, s6, v18
	v_addc_co_u32_e32 v37, vcc, 0, v19, vcc
	v_add_co_u32_e32 v38, vcc, 0x5000, v18
	v_addc_co_u32_e32 v39, vcc, 0, v19, vcc
	v_add_co_u32_e32 v40, vcc, 0x6000, v18
	global_load_dwordx4 v[2:5], v[18:19], off
	global_load_dwordx4 v[6:9], v[18:19], off offset:3584
	global_load_dwordx4 v[10:13], v[20:21], off offset:3072
	;; [unrolled: 1-line block ×3, first 2 shown]
	v_addc_co_u32_e32 v41, vcc, 0, v19, vcc
	global_load_dwordx4 v[18:21], v[34:35], off offset:2048
	global_load_dwordx4 v[22:25], v[36:37], off offset:1536
	;; [unrolled: 1-line block ×4, first 2 shown]
	s_movk_i32 s6, 0xdf
	v_add_u32_e32 v34, 0, v42
	v_cmp_eq_u32_e32 vcc, s6, v60
	s_waitcnt vmcnt(7)
	ds_write_b128 v34, v[2:5]
	s_waitcnt vmcnt(6)
	ds_write_b128 v34, v[6:9] offset:3584
	s_waitcnt vmcnt(5)
	ds_write_b128 v34, v[10:13] offset:7168
	;; [unrolled: 2-line block ×7, first 2 shown]
	s_and_saveexec_b64 s[6:7], vcc
	s_cbranch_execz .LBB0_14
; %bb.13:
	v_add_co_u32_e32 v1, vcc, 0x7000, v1
	v_addc_co_u32_e32 v2, vcc, 0, v0, vcc
	global_load_dwordx4 v[0:3], v[1:2], off
	v_mov_b32_e32 v4, 0
	v_mov_b32_e32 v60, 0xdf
	s_waitcnt vmcnt(0)
	ds_write_b128 v4, v[0:3] offset:28672
.LBB0_14:
	s_or_b64 exec, exec, s[6:7]
.LBB0_15:
	s_or_b64 exec, exec, s[2:3]
	v_lshlrev_b32_e32 v0, 4, v60
	v_add_u32_e32 v62, 0, v0
	s_waitcnt lgkmcnt(0)
	s_barrier
	v_sub_u32_e32 v10, 0, v0
	ds_read_b64 v[6:7], v62
	ds_read_b64 v[8:9], v10 offset:28672
	s_add_u32 s6, s12, 0x6fc0
	s_addc_u32 s7, s13, 0
	v_cmp_ne_u32_e32 vcc, 0, v60
                                        ; implicit-def: $vgpr4_vgpr5
	s_waitcnt lgkmcnt(0)
	v_add_f64 v[0:1], v[6:7], v[8:9]
	v_add_f64 v[2:3], v[6:7], -v[8:9]
	s_and_saveexec_b64 s[2:3], vcc
	s_xor_b64 s[2:3], exec, s[2:3]
	s_cbranch_execz .LBB0_17
; %bb.16:
	v_mov_b32_e32 v61, 0
	v_lshlrev_b64 v[0:1], 4, v[60:61]
	v_mov_b32_e32 v2, s7
	v_add_co_u32_e32 v0, vcc, s6, v0
	v_addc_co_u32_e32 v1, vcc, v2, v1, vcc
	global_load_dwordx4 v[2:5], v[0:1], off
	ds_read_b64 v[0:1], v10 offset:28680
	ds_read_b64 v[11:12], v62 offset:8
	v_add_f64 v[13:14], v[6:7], v[8:9]
	v_add_f64 v[8:9], v[6:7], -v[8:9]
	s_waitcnt lgkmcnt(0)
	v_add_f64 v[15:16], v[0:1], v[11:12]
	v_add_f64 v[0:1], v[11:12], -v[0:1]
	s_waitcnt vmcnt(0)
	v_fma_f64 v[6:7], -v[8:9], v[4:5], v[13:14]
	v_fma_f64 v[11:12], v[15:16], v[4:5], -v[0:1]
	v_fma_f64 v[13:14], v[8:9], v[4:5], v[13:14]
	v_fma_f64 v[17:18], v[15:16], v[4:5], v[0:1]
	;; [unrolled: 1-line block ×4, first 2 shown]
	v_fma_f64 v[0:1], -v[15:16], v[2:3], v[13:14]
	v_fma_f64 v[2:3], v[8:9], v[2:3], v[17:18]
	ds_write_b128 v10, v[4:7] offset:28672
	v_mov_b32_e32 v4, v60
	v_mov_b32_e32 v5, v61
.LBB0_17:
	s_andn2_saveexec_b64 s[2:3], s[2:3]
	s_cbranch_execz .LBB0_19
; %bb.18:
	v_mov_b32_e32 v8, 0
	ds_read_b128 v[4:7], v8 offset:14336
	s_waitcnt lgkmcnt(0)
	v_add_f64 v[11:12], v[4:5], v[4:5]
	v_mul_f64 v[13:14], v[6:7], -2.0
	v_mov_b32_e32 v4, 0
	v_mov_b32_e32 v5, 0
	ds_write_b128 v8, v[11:14] offset:14336
.LBB0_19:
	s_or_b64 exec, exec, s[2:3]
	v_lshlrev_b64 v[4:5], 4, v[4:5]
	v_mov_b32_e32 v6, s7
	v_add_co_u32_e32 v8, vcc, s6, v4
	v_addc_co_u32_e32 v9, vcc, v6, v5, vcc
	global_load_dwordx4 v[4:7], v[8:9], off offset:3584
	s_movk_i32 s6, 0x1000
	v_add_co_u32_e32 v11, vcc, s6, v8
	v_addc_co_u32_e32 v12, vcc, 0, v9, vcc
	global_load_dwordx4 v[11:14], v[11:12], off offset:3072
	s_movk_i32 s2, 0x2000
	v_add_co_u32_e32 v8, vcc, s2, v8
	ds_write_b128 v62, v[0:3]
	v_addc_co_u32_e32 v9, vcc, 0, v9, vcc
	ds_read_b128 v[0:3], v62 offset:3584
	ds_read_b128 v[15:18], v10 offset:25088
	global_load_dwordx4 v[19:22], v[8:9], off offset:2560
	v_and_b32_e32 v43, 3, v60
	v_mad_u32_u24 v42, v60, 48, v62
	v_add_u32_e32 v61, 0xe0, v60
	s_waitcnt lgkmcnt(0)
	v_add_f64 v[8:9], v[0:1], v[15:16]
	v_add_f64 v[23:24], v[17:18], v[2:3]
	v_add_f64 v[15:16], v[0:1], -v[15:16]
	v_add_f64 v[0:1], v[2:3], -v[17:18]
	v_lshl_add_u32 v44, v61, 6, 0
	s_movk_i32 s2, 0x3f0
	s_movk_i32 s3, 0x7f0
	v_and_b32_e32 v71, 15, v60
	v_cmp_gt_u32_e32 vcc, 32, v60
	s_waitcnt vmcnt(2)
	v_fma_f64 v[2:3], v[15:16], v[6:7], v[8:9]
	v_fma_f64 v[17:18], v[23:24], v[6:7], v[0:1]
	v_fma_f64 v[8:9], -v[15:16], v[6:7], v[8:9]
	v_fma_f64 v[25:26], v[23:24], v[6:7], -v[0:1]
	v_fma_f64 v[0:1], -v[23:24], v[4:5], v[2:3]
	v_fma_f64 v[2:3], v[15:16], v[4:5], v[17:18]
	v_fma_f64 v[6:7], v[23:24], v[4:5], v[8:9]
	;; [unrolled: 1-line block ×3, first 2 shown]
	ds_write_b128 v62, v[0:3] offset:3584
	ds_write_b128 v10, v[6:9] offset:25088
	ds_read_b128 v[0:3], v62 offset:7168
	ds_read_b128 v[4:7], v10 offset:21504
	s_waitcnt lgkmcnt(0)
	v_add_f64 v[8:9], v[0:1], v[4:5]
	v_add_f64 v[15:16], v[6:7], v[2:3]
	v_add_f64 v[17:18], v[0:1], -v[4:5]
	v_add_f64 v[0:1], v[2:3], -v[6:7]
	s_waitcnt vmcnt(1)
	v_fma_f64 v[2:3], v[17:18], v[13:14], v[8:9]
	v_fma_f64 v[4:5], v[15:16], v[13:14], v[0:1]
	v_fma_f64 v[6:7], -v[17:18], v[13:14], v[8:9]
	v_fma_f64 v[8:9], v[15:16], v[13:14], -v[0:1]
	v_fma_f64 v[0:1], -v[15:16], v[11:12], v[2:3]
	v_fma_f64 v[2:3], v[17:18], v[11:12], v[4:5]
	v_fma_f64 v[4:5], v[15:16], v[11:12], v[6:7]
	;; [unrolled: 1-line block ×3, first 2 shown]
	ds_write_b128 v62, v[0:3] offset:7168
	ds_write_b128 v10, v[4:7] offset:21504
	ds_read_b128 v[0:3], v62 offset:10752
	ds_read_b128 v[4:7], v10 offset:17920
	s_waitcnt lgkmcnt(0)
	v_add_f64 v[8:9], v[0:1], v[4:5]
	v_add_f64 v[11:12], v[6:7], v[2:3]
	v_add_f64 v[13:14], v[0:1], -v[4:5]
	v_add_f64 v[0:1], v[2:3], -v[6:7]
	s_waitcnt vmcnt(0)
	v_fma_f64 v[2:3], v[13:14], v[21:22], v[8:9]
	v_fma_f64 v[4:5], v[11:12], v[21:22], v[0:1]
	v_fma_f64 v[6:7], -v[13:14], v[21:22], v[8:9]
	v_fma_f64 v[8:9], v[11:12], v[21:22], -v[0:1]
	v_fma_f64 v[0:1], -v[11:12], v[19:20], v[2:3]
	v_fma_f64 v[2:3], v[13:14], v[19:20], v[4:5]
	v_fma_f64 v[4:5], v[11:12], v[19:20], v[6:7]
	;; [unrolled: 1-line block ×3, first 2 shown]
	v_mul_u32_u24_e32 v8, 3, v43
	v_lshlrev_b32_e32 v45, 4, v8
	ds_write_b128 v62, v[0:3] offset:10752
	ds_write_b128 v10, v[4:7] offset:17920
	s_waitcnt lgkmcnt(0)
	s_barrier
	s_barrier
	ds_read_b128 v[0:3], v62 offset:7168
	ds_read_b128 v[4:7], v62 offset:10752
	;; [unrolled: 1-line block ×5, first 2 shown]
	ds_read_b128 v[20:23], v62
	ds_read_b128 v[24:27], v62 offset:3584
	ds_read_b128 v[28:31], v62 offset:17920
	s_waitcnt lgkmcnt(5)
	v_add_f64 v[8:9], v[0:1], -v[8:9]
	v_add_f64 v[10:11], v[2:3], -v[10:11]
	s_waitcnt lgkmcnt(2)
	v_add_f64 v[16:17], v[20:21], -v[16:17]
	v_add_f64 v[18:19], v[22:23], -v[18:19]
	;; [unrolled: 3-line block ×3, first 2 shown]
	v_add_f64 v[30:31], v[4:5], -v[12:13]
	v_add_f64 v[12:13], v[6:7], -v[14:15]
	v_fma_f64 v[14:15], v[0:1], 2.0, -v[8:9]
	v_fma_f64 v[34:35], v[2:3], 2.0, -v[10:11]
	;; [unrolled: 1-line block ×8, first 2 shown]
	v_add_f64 v[0:1], v[16:17], -v[10:11]
	v_add_f64 v[2:3], v[18:19], v[8:9]
	v_add_f64 v[8:9], v[36:37], -v[14:15]
	v_add_f64 v[10:11], v[22:23], -v[34:35]
	;; [unrolled: 1-line block ×5, first 2 shown]
	v_add_f64 v[6:7], v[32:33], v[30:31]
	v_fma_f64 v[16:17], v[16:17], 2.0, -v[0:1]
	v_fma_f64 v[18:19], v[18:19], 2.0, -v[2:3]
	v_fma_f64 v[24:25], v[36:37], 2.0, -v[8:9]
	v_fma_f64 v[26:27], v[22:23], 2.0, -v[10:11]
	v_fma_f64 v[20:21], v[28:29], 2.0, -v[4:5]
	v_fma_f64 v[28:29], v[38:39], 2.0, -v[12:13]
	v_fma_f64 v[30:31], v[40:41], 2.0, -v[14:15]
	v_fma_f64 v[22:23], v[32:33], 2.0, -v[6:7]
	s_barrier
	ds_write_b128 v42, v[0:3] offset:48
	ds_write_b128 v42, v[16:19] offset:16
	;; [unrolled: 1-line block ×3, first 2 shown]
	ds_write_b128 v42, v[24:27]
	ds_write_b128 v44, v[28:31]
	ds_write_b128 v44, v[20:23] offset:16
	ds_write_b128 v44, v[12:15] offset:32
	;; [unrolled: 1-line block ×3, first 2 shown]
	s_waitcnt lgkmcnt(0)
	s_barrier
	global_load_dwordx4 v[2:5], v45, s[12:13]
	global_load_dwordx4 v[6:9], v45, s[12:13] offset:16
	global_load_dwordx4 v[10:13], v45, s[12:13] offset:32
	v_lshlrev_b32_e32 v0, 2, v60
	v_and_or_b32 v14, v0, s2, v43
	v_lshlrev_b32_e32 v1, 2, v61
	v_mul_u32_u24_e32 v15, 3, v71
	v_lshl_add_u32 v72, v14, 4, 0
	v_and_or_b32 v14, v1, s3, v43
	v_lshlrev_b32_e32 v73, 4, v15
	v_lshl_add_u32 v74, v14, 4, 0
	ds_read_b128 v[14:17], v62 offset:7168
	ds_read_b128 v[18:21], v62 offset:10752
	;; [unrolled: 1-line block ×6, first 2 shown]
	ds_read_b128 v[38:41], v62
	ds_read_b128 v[42:45], v62 offset:3584
	s_waitcnt vmcnt(0) lgkmcnt(0)
	s_barrier
	s_movk_i32 s2, 0x3c0
	s_movk_i32 s3, 0x7c0
	v_mul_f64 v[46:47], v[16:17], v[4:5]
	v_mul_f64 v[48:49], v[14:15], v[4:5]
	v_mul_f64 v[50:51], v[20:21], v[4:5]
	v_mul_f64 v[4:5], v[18:19], v[4:5]
	v_mul_f64 v[52:53], v[24:25], v[8:9]
	v_mul_f64 v[54:55], v[22:23], v[8:9]
	v_mul_f64 v[65:66], v[32:33], v[12:13]
	v_mul_f64 v[67:68], v[30:31], v[12:13]
	v_mul_f64 v[63:64], v[28:29], v[8:9]
	v_mul_f64 v[8:9], v[26:27], v[8:9]
	v_mul_f64 v[69:70], v[36:37], v[12:13]
	v_mul_f64 v[12:13], v[34:35], v[12:13]
	v_fma_f64 v[14:15], v[14:15], v[2:3], -v[46:47]
	v_fma_f64 v[16:17], v[16:17], v[2:3], v[48:49]
	v_fma_f64 v[18:19], v[18:19], v[2:3], -v[50:51]
	v_fma_f64 v[2:3], v[20:21], v[2:3], v[4:5]
	;; [unrolled: 2-line block ×6, first 2 shown]
	v_add_f64 v[28:29], v[38:39], -v[4:5]
	v_add_f64 v[20:21], v[40:41], -v[20:21]
	;; [unrolled: 1-line block ×8, first 2 shown]
	v_fma_f64 v[26:27], v[38:39], 2.0, -v[28:29]
	v_fma_f64 v[30:31], v[40:41], 2.0, -v[20:21]
	;; [unrolled: 1-line block ×8, first 2 shown]
	v_add_f64 v[2:3], v[28:29], -v[12:13]
	v_add_f64 v[4:5], v[20:21], v[4:5]
	v_add_f64 v[10:11], v[26:27], -v[10:11]
	v_add_f64 v[12:13], v[30:31], -v[14:15]
	;; [unrolled: 1-line block ×3, first 2 shown]
	v_add_f64 v[8:9], v[24:25], v[8:9]
	v_add_f64 v[14:15], v[32:33], -v[16:17]
	v_add_f64 v[16:17], v[34:35], -v[18:19]
	v_fma_f64 v[18:19], v[28:29], 2.0, -v[2:3]
	v_fma_f64 v[20:21], v[20:21], 2.0, -v[4:5]
	;; [unrolled: 1-line block ×8, first 2 shown]
	ds_write_b128 v72, v[2:5] offset:192
	ds_write_b128 v72, v[18:21] offset:64
	ds_write_b128 v72, v[10:13] offset:128
	ds_write_b128 v72, v[26:29]
	ds_write_b128 v74, v[30:33]
	ds_write_b128 v74, v[22:25] offset:64
	ds_write_b128 v74, v[14:17] offset:128
	;; [unrolled: 1-line block ×3, first 2 shown]
	s_waitcnt lgkmcnt(0)
	s_barrier
	global_load_dwordx4 v[2:5], v73, s[12:13] offset:192
	global_load_dwordx4 v[6:9], v73, s[12:13] offset:208
	;; [unrolled: 1-line block ×3, first 2 shown]
	v_and_b32_e32 v72, 63, v60
	v_and_or_b32 v14, v0, s2, v71
	v_mul_u32_u24_e32 v15, 3, v72
	v_lshl_add_u32 v73, v14, 4, 0
	v_and_or_b32 v14, v1, s3, v71
	v_lshlrev_b32_e32 v71, 4, v15
	v_lshl_add_u32 v74, v14, 4, 0
	ds_read_b128 v[14:17], v62 offset:7168
	ds_read_b128 v[18:21], v62 offset:10752
	;; [unrolled: 1-line block ×6, first 2 shown]
	ds_read_b128 v[38:41], v62
	ds_read_b128 v[42:45], v62 offset:3584
	s_waitcnt vmcnt(0) lgkmcnt(0)
	s_barrier
	s_movk_i32 s2, 0x300
	s_movk_i32 s3, 0x700
	v_and_or_b32 v0, v0, s2, v72
	v_lshl_add_u32 v75, v0, 4, 0
	v_mul_f64 v[46:47], v[16:17], v[4:5]
	v_mul_f64 v[48:49], v[14:15], v[4:5]
	;; [unrolled: 1-line block ×12, first 2 shown]
	v_fma_f64 v[14:15], v[14:15], v[2:3], -v[46:47]
	v_fma_f64 v[16:17], v[16:17], v[2:3], v[48:49]
	v_fma_f64 v[18:19], v[18:19], v[2:3], -v[50:51]
	v_fma_f64 v[2:3], v[20:21], v[2:3], v[4:5]
	;; [unrolled: 2-line block ×6, first 2 shown]
	v_add_f64 v[28:29], v[38:39], -v[4:5]
	v_add_f64 v[20:21], v[40:41], -v[20:21]
	;; [unrolled: 1-line block ×8, first 2 shown]
	v_fma_f64 v[26:27], v[38:39], 2.0, -v[28:29]
	v_fma_f64 v[30:31], v[40:41], 2.0, -v[20:21]
	;; [unrolled: 1-line block ×8, first 2 shown]
	v_add_f64 v[2:3], v[28:29], -v[12:13]
	v_add_f64 v[4:5], v[20:21], v[4:5]
	v_add_f64 v[10:11], v[26:27], -v[10:11]
	v_add_f64 v[12:13], v[30:31], -v[14:15]
	;; [unrolled: 1-line block ×3, first 2 shown]
	v_add_f64 v[8:9], v[24:25], v[8:9]
	v_add_f64 v[14:15], v[32:33], -v[16:17]
	v_add_f64 v[16:17], v[34:35], -v[18:19]
	v_fma_f64 v[18:19], v[28:29], 2.0, -v[2:3]
	v_fma_f64 v[20:21], v[20:21], 2.0, -v[4:5]
	;; [unrolled: 1-line block ×8, first 2 shown]
	ds_write_b128 v73, v[2:5] offset:768
	ds_write_b128 v73, v[18:21] offset:256
	ds_write_b128 v73, v[10:13] offset:512
	ds_write_b128 v73, v[26:29]
	ds_write_b128 v74, v[30:33]
	ds_write_b128 v74, v[22:25] offset:256
	ds_write_b128 v74, v[14:17] offset:512
	;; [unrolled: 1-line block ×3, first 2 shown]
	v_and_b32_e32 v26, 63, v61
	v_mul_u32_u24_e32 v14, 3, v26
	s_waitcnt lgkmcnt(0)
	s_barrier
	global_load_dwordx4 v[2:5], v71, s[12:13] offset:960
	global_load_dwordx4 v[6:9], v71, s[12:13] offset:976
	;; [unrolled: 1-line block ×3, first 2 shown]
	v_lshlrev_b32_e32 v27, 4, v14
	global_load_dwordx4 v[14:17], v27, s[12:13] offset:960
	global_load_dwordx4 v[18:21], v27, s[12:13] offset:976
	;; [unrolled: 1-line block ×3, first 2 shown]
	v_and_or_b32 v0, v1, s3, v26
	ds_read_b128 v[26:29], v62 offset:7168
	ds_read_b128 v[30:33], v62 offset:10752
	;; [unrolled: 1-line block ×6, first 2 shown]
	ds_read_b128 v[50:53], v62
	ds_read_b128 v[63:66], v62 offset:3584
	v_lshl_add_u32 v76, v0, 4, 0
	s_waitcnt vmcnt(0) lgkmcnt(0)
	s_barrier
	v_mul_f64 v[0:1], v[28:29], v[4:5]
	v_mul_f64 v[4:5], v[26:27], v[4:5]
	;; [unrolled: 1-line block ×12, first 2 shown]
	v_fma_f64 v[0:1], v[26:27], v[2:3], -v[0:1]
	v_fma_f64 v[2:3], v[28:29], v[2:3], v[4:5]
	v_fma_f64 v[4:5], v[34:35], v[6:7], -v[54:55]
	v_fma_f64 v[6:7], v[36:37], v[6:7], v[8:9]
	;; [unrolled: 2-line block ×6, first 2 shown]
	v_add_f64 v[24:25], v[50:51], -v[4:5]
	v_add_f64 v[26:27], v[52:53], -v[6:7]
	;; [unrolled: 1-line block ×8, first 2 shown]
	v_fma_f64 v[22:23], v[50:51], 2.0, -v[24:25]
	v_fma_f64 v[30:31], v[52:53], 2.0, -v[26:27]
	v_fma_f64 v[10:11], v[0:1], 2.0, -v[6:7]
	v_fma_f64 v[2:3], v[2:3], 2.0, -v[4:5]
	v_fma_f64 v[34:35], v[63:64], 2.0, -v[28:29]
	v_fma_f64 v[36:37], v[65:66], 2.0, -v[32:33]
	v_fma_f64 v[12:13], v[12:13], 2.0, -v[16:17]
	v_fma_f64 v[14:15], v[14:15], 2.0, -v[8:9]
	v_add_f64 v[4:5], v[24:25], -v[4:5]
	v_add_f64 v[6:7], v[26:27], v[6:7]
	v_add_f64 v[0:1], v[28:29], -v[8:9]
	v_add_f64 v[8:9], v[22:23], -v[10:11]
	;; [unrolled: 1-line block ×3, first 2 shown]
	v_add_f64 v[2:3], v[32:33], v[16:17]
	v_add_f64 v[12:13], v[34:35], -v[12:13]
	v_add_f64 v[14:15], v[36:37], -v[14:15]
	v_fma_f64 v[16:17], v[24:25], 2.0, -v[4:5]
	v_fma_f64 v[18:19], v[26:27], 2.0, -v[6:7]
	;; [unrolled: 1-line block ×8, first 2 shown]
	ds_write_b128 v75, v[4:7] offset:3072
	ds_write_b128 v75, v[16:19] offset:1024
	;; [unrolled: 1-line block ×3, first 2 shown]
	ds_write_b128 v75, v[24:27]
	ds_write_b128 v76, v[28:31]
	ds_write_b128 v76, v[20:23] offset:1024
	ds_write_b128 v76, v[12:15] offset:2048
	;; [unrolled: 1-line block ×3, first 2 shown]
	s_waitcnt lgkmcnt(0)
	s_barrier
	ds_read_b128 v[28:31], v62
	ds_read_b128 v[52:55], v62 offset:4096
	ds_read_b128 v[48:51], v62 offset:8192
	ds_read_b128 v[44:47], v62 offset:12288
	ds_read_b128 v[36:39], v62 offset:16384
	ds_read_b128 v[32:35], v62 offset:20480
	ds_read_b128 v[40:43], v62 offset:24576
                                        ; implicit-def: $vgpr26_vgpr27
                                        ; implicit-def: $vgpr22_vgpr23
                                        ; implicit-def: $vgpr18_vgpr19
                                        ; implicit-def: $vgpr14_vgpr15
                                        ; implicit-def: $vgpr10_vgpr11
                                        ; implicit-def: $vgpr6_vgpr7
	s_and_saveexec_b64 s[2:3], vcc
	s_cbranch_execz .LBB0_21
; %bb.20:
	ds_read_b128 v[0:3], v62 offset:3584
	ds_read_b128 v[4:7], v62 offset:7680
	;; [unrolled: 1-line block ×7, first 2 shown]
.LBB0_21:
	s_or_b64 exec, exec, s[2:3]
	v_mul_u32_u24_e32 v63, 6, v60
	v_lshlrev_b32_e32 v79, 4, v63
	global_load_dwordx4 v[63:66], v79, s[12:13] offset:4032
	global_load_dwordx4 v[67:70], v79, s[12:13] offset:4048
	v_mov_b32_e32 v80, s13
	global_load_dwordx4 v[71:74], v79, s[12:13] offset:4080
	global_load_dwordx4 v[75:78], v79, s[12:13] offset:4064
	v_add_co_u32_e64 v79, s[2:3], s12, v79
	v_addc_co_u32_e64 v80, s[2:3], 0, v80, s[2:3]
	v_add_co_u32_e64 v87, s[2:3], s6, v79
	v_addc_co_u32_e64 v88, s[2:3], 0, v80, s[2:3]
	global_load_dwordx4 v[79:82], v[87:88], off offset:16
	global_load_dwordx4 v[83:86], v[87:88], off
	s_mov_b32 s6, 0x37e14327
	s_mov_b32 s8, 0x36b3c0b5
	;; [unrolled: 1-line block ×20, first 2 shown]
	s_waitcnt vmcnt(0) lgkmcnt(0)
	s_barrier
	v_mul_f64 v[87:88], v[54:55], v[65:66]
	v_mul_f64 v[65:66], v[52:53], v[65:66]
	;; [unrolled: 1-line block ×8, first 2 shown]
	v_fma_f64 v[52:53], v[52:53], v[63:64], -v[87:88]
	v_fma_f64 v[54:55], v[54:55], v[63:64], v[65:66]
	v_fma_f64 v[48:49], v[48:49], v[67:68], -v[89:90]
	v_mul_f64 v[95:96], v[42:43], v[81:82]
	v_mul_f64 v[81:82], v[40:41], v[81:82]
	v_mul_f64 v[97:98], v[34:35], v[85:86]
	v_mul_f64 v[85:86], v[32:33], v[85:86]
	v_fma_f64 v[50:51], v[50:51], v[67:68], v[69:70]
	v_fma_f64 v[44:45], v[44:45], v[75:76], -v[91:92]
	v_fma_f64 v[46:47], v[46:47], v[75:76], v[77:78]
	v_fma_f64 v[36:37], v[36:37], v[71:72], -v[93:94]
	v_fma_f64 v[40:41], v[40:41], v[79:80], -v[95:96]
	v_fma_f64 v[42:43], v[42:43], v[79:80], v[81:82]
	v_fma_f64 v[32:33], v[32:33], v[83:84], -v[97:98]
	v_fma_f64 v[34:35], v[34:35], v[83:84], v[85:86]
	v_fma_f64 v[38:39], v[38:39], v[71:72], v[73:74]
	v_add_f64 v[63:64], v[44:45], v[36:37]
	v_add_f64 v[67:68], v[52:53], v[40:41]
	;; [unrolled: 1-line block ×6, first 2 shown]
	v_add_f64 v[36:37], v[36:37], -v[44:45]
	v_add_f64 v[38:39], v[38:39], -v[46:47]
	v_add_f64 v[32:33], v[48:49], -v[32:33]
	v_add_f64 v[34:35], v[50:51], -v[34:35]
	v_add_f64 v[40:41], v[52:53], -v[40:41]
	v_add_f64 v[44:45], v[71:72], v[67:68]
	v_add_f64 v[46:47], v[73:74], v[69:70]
	v_add_f64 v[42:43], v[54:55], -v[42:43]
	v_add_f64 v[48:49], v[71:72], -v[67:68]
	;; [unrolled: 1-line block ×7, first 2 shown]
	v_add_f64 v[71:72], v[36:37], v[32:33]
	v_add_f64 v[73:74], v[38:39], v[34:35]
	v_add_f64 v[75:76], v[36:37], -v[32:33]
	v_add_f64 v[77:78], v[38:39], -v[34:35]
	v_add_f64 v[44:45], v[63:64], v[44:45]
	v_add_f64 v[46:47], v[65:66], v[46:47]
	v_add_f64 v[32:33], v[32:33], -v[40:41]
	v_add_f64 v[34:35], v[34:35], -v[42:43]
	;; [unrolled: 1-line block ×4, first 2 shown]
	v_add_f64 v[40:41], v[71:72], v[40:41]
	v_add_f64 v[42:43], v[73:74], v[42:43]
	v_mul_f64 v[52:53], v[52:53], s[6:7]
	v_mul_f64 v[54:55], v[54:55], s[6:7]
	;; [unrolled: 1-line block ×6, first 2 shown]
	v_add_f64 v[28:29], v[28:29], v[44:45]
	v_add_f64 v[30:31], v[30:31], v[46:47]
	v_mul_f64 v[75:76], v[32:33], s[2:3]
	v_mul_f64 v[77:78], v[34:35], s[2:3]
	v_fma_f64 v[67:68], v[67:68], s[8:9], v[52:53]
	v_fma_f64 v[69:70], v[69:70], s[8:9], v[54:55]
	v_fma_f64 v[63:64], v[48:49], s[16:17], -v[63:64]
	v_fma_f64 v[65:66], v[50:51], s[16:17], -v[65:66]
	;; [unrolled: 1-line block ×4, first 2 shown]
	v_fma_f64 v[52:53], v[36:37], s[22:23], v[71:72]
	v_fma_f64 v[54:55], v[38:39], s[22:23], v[73:74]
	;; [unrolled: 1-line block ×4, first 2 shown]
	v_fma_f64 v[36:37], v[36:37], s[26:27], -v[75:76]
	v_fma_f64 v[38:39], v[38:39], s[26:27], -v[77:78]
	v_fma_f64 v[32:33], v[32:33], s[2:3], -v[71:72]
	v_fma_f64 v[34:35], v[34:35], s[2:3], -v[73:74]
	v_fma_f64 v[71:72], v[40:41], s[24:25], v[52:53]
	v_fma_f64 v[52:53], v[42:43], s[24:25], v[54:55]
	v_add_f64 v[67:68], v[67:68], v[44:45]
	v_add_f64 v[69:70], v[69:70], v[46:47]
	v_fma_f64 v[75:76], v[40:41], s[24:25], v[36:37]
	v_fma_f64 v[77:78], v[42:43], s[24:25], v[38:39]
	v_add_f64 v[48:49], v[48:49], v[44:45]
	v_add_f64 v[50:51], v[50:51], v[46:47]
	;; [unrolled: 4-line block ×3, first 2 shown]
	v_add_f64 v[32:33], v[52:53], v[67:68]
	v_add_f64 v[34:35], v[69:70], -v[71:72]
	v_add_f64 v[36:37], v[77:78], v[48:49]
	v_add_f64 v[38:39], v[50:51], -v[75:76]
	v_add_f64 v[48:49], v[48:49], -v[77:78]
	v_add_f64 v[50:51], v[75:76], v[50:51]
	v_add_f64 v[40:41], v[44:45], -v[73:74]
	v_add_f64 v[42:43], v[54:55], v[46:47]
	v_add_f64 v[44:45], v[73:74], v[44:45]
	v_add_f64 v[46:47], v[46:47], -v[54:55]
	v_add_f64 v[52:53], v[67:68], -v[52:53]
	v_add_f64 v[54:55], v[71:72], v[69:70]
	ds_write_b128 v62, v[28:31]
	ds_write_b128 v62, v[32:35] offset:4096
	ds_write_b128 v62, v[36:39] offset:8192
	ds_write_b128 v62, v[40:43] offset:12288
	ds_write_b128 v62, v[44:47] offset:16384
	ds_write_b128 v62, v[48:51] offset:20480
	ds_write_b128 v62, v[52:55] offset:24576
	s_and_saveexec_b64 s[28:29], vcc
	s_cbranch_execz .LBB0_23
; %bb.22:
	v_mov_b32_e32 v28, 6
	v_mul_u32_u24_sdwa v28, v61, v28 dst_sel:DWORD dst_unused:UNUSED_PAD src0_sel:BYTE_0 src1_sel:DWORD
	v_lshlrev_b32_e32 v44, 4, v28
	v_mov_b32_e32 v28, s13
	v_add_co_u32_e32 v45, vcc, s12, v44
	v_addc_co_u32_e32 v46, vcc, 0, v28, vcc
	global_load_dwordx4 v[28:31], v44, s[12:13] offset:4080
	global_load_dwordx4 v[32:35], v44, s[12:13] offset:4064
	;; [unrolled: 1-line block ×4, first 2 shown]
	s_movk_i32 s12, 0x1000
	v_add_co_u32_e32 v52, vcc, s12, v45
	v_addc_co_u32_e32 v53, vcc, 0, v46, vcc
	global_load_dwordx4 v[44:47], v[52:53], off
	global_load_dwordx4 v[48:51], v[52:53], off offset:16
	s_waitcnt vmcnt(5)
	v_mul_f64 v[52:53], v[18:19], v[30:31]
	s_waitcnt vmcnt(4)
	v_mul_f64 v[54:55], v[14:15], v[34:35]
	;; [unrolled: 2-line block ×4, first 2 shown]
	v_mul_f64 v[34:35], v[12:13], v[34:35]
	v_mul_f64 v[30:31], v[16:17], v[30:31]
	;; [unrolled: 1-line block ×4, first 2 shown]
	s_waitcnt vmcnt(1)
	v_mul_f64 v[67:68], v[22:23], v[46:47]
	s_waitcnt vmcnt(0)
	v_mul_f64 v[69:70], v[26:27], v[50:51]
	v_mul_f64 v[46:47], v[20:21], v[46:47]
	;; [unrolled: 1-line block ×3, first 2 shown]
	v_fma_f64 v[16:17], v[16:17], v[28:29], -v[52:53]
	v_fma_f64 v[12:13], v[12:13], v[32:33], -v[54:55]
	;; [unrolled: 1-line block ×4, first 2 shown]
	v_fma_f64 v[14:15], v[14:15], v[32:33], v[34:35]
	v_fma_f64 v[18:19], v[18:19], v[28:29], v[30:31]
	;; [unrolled: 1-line block ×4, first 2 shown]
	v_fma_f64 v[20:21], v[20:21], v[44:45], -v[67:68]
	v_fma_f64 v[24:25], v[24:25], v[48:49], -v[69:70]
	v_fma_f64 v[22:23], v[22:23], v[44:45], v[46:47]
	v_fma_f64 v[26:27], v[26:27], v[48:49], v[50:51]
	v_add_f64 v[28:29], v[16:17], -v[12:13]
	v_add_f64 v[30:31], v[14:15], v[18:19]
	v_add_f64 v[12:13], v[12:13], v[16:17]
	v_add_f64 v[14:15], v[18:19], -v[14:15]
	v_add_f64 v[16:17], v[8:9], -v[20:21]
	v_add_f64 v[18:19], v[4:5], -v[24:25]
	v_add_f64 v[32:33], v[10:11], v[22:23]
	v_add_f64 v[34:35], v[6:7], v[26:27]
	;; [unrolled: 1-line block ×4, first 2 shown]
	v_add_f64 v[10:11], v[10:11], -v[22:23]
	v_add_f64 v[6:7], v[6:7], -v[26:27]
	v_add_f64 v[20:21], v[28:29], v[16:17]
	v_add_f64 v[22:23], v[28:29], -v[16:17]
	v_add_f64 v[24:25], v[18:19], -v[28:29]
	;; [unrolled: 1-line block ×3, first 2 shown]
	v_add_f64 v[36:37], v[32:33], v[34:35]
	v_add_f64 v[42:43], v[8:9], v[4:5]
	v_add_f64 v[38:39], v[12:13], -v[8:9]
	v_add_f64 v[40:41], v[4:5], -v[12:13]
	v_add_f64 v[44:45], v[14:15], v[10:11]
	v_add_f64 v[46:47], v[14:15], -v[10:11]
	v_add_f64 v[16:17], v[16:17], -v[18:19]
	;; [unrolled: 1-line block ×4, first 2 shown]
	v_add_f64 v[10:11], v[20:21], v[18:19]
	v_mul_f64 v[18:19], v[22:23], s[18:19]
	v_mul_f64 v[22:23], v[28:29], s[6:7]
	v_add_f64 v[28:29], v[30:31], v[36:37]
	v_add_f64 v[12:13], v[12:13], v[42:43]
	v_add_f64 v[26:27], v[30:31], -v[32:33]
	v_add_f64 v[14:15], v[6:7], -v[14:15]
	;; [unrolled: 1-line block ×3, first 2 shown]
	v_mul_f64 v[34:35], v[40:41], s[6:7]
	v_mul_f64 v[36:37], v[46:47], s[18:19]
	;; [unrolled: 1-line block ×3, first 2 shown]
	v_add_f64 v[2:3], v[2:3], v[28:29]
	v_add_f64 v[0:1], v[0:1], v[12:13]
	v_mul_f64 v[42:43], v[8:9], s[2:3]
	v_mul_f64 v[20:21], v[26:27], s[8:9]
	;; [unrolled: 1-line block ×3, first 2 shown]
	v_add_f64 v[6:7], v[44:45], v[6:7]
	v_fma_f64 v[44:45], v[24:25], s[22:23], v[18:19]
	v_fma_f64 v[26:27], v[26:27], s[8:9], v[22:23]
	;; [unrolled: 1-line block ×4, first 2 shown]
	v_fma_f64 v[24:25], v[24:25], s[26:27], -v[40:41]
	v_fma_f64 v[22:23], v[32:33], s[20:21], -v[22:23]
	;; [unrolled: 1-line block ×3, first 2 shown]
	v_fma_f64 v[18:19], v[28:29], s[14:15], v[2:3]
	v_fma_f64 v[12:13], v[12:13], s[14:15], v[0:1]
	v_fma_f64 v[34:35], v[4:5], s[20:21], -v[34:35]
	v_fma_f64 v[14:15], v[14:15], s[26:27], -v[42:43]
	;; [unrolled: 1-line block ×5, first 2 shown]
	v_fma_f64 v[28:29], v[10:11], s[24:25], v[44:45]
	v_fma_f64 v[30:31], v[6:7], s[24:25], v[46:47]
	;; [unrolled: 1-line block ×3, first 2 shown]
	v_add_f64 v[26:27], v[26:27], v[18:19]
	v_add_f64 v[22:23], v[22:23], v[18:19]
	;; [unrolled: 1-line block ×3, first 2 shown]
	v_fma_f64 v[32:33], v[6:7], s[24:25], v[14:15]
	v_add_f64 v[34:35], v[34:35], v[12:13]
	v_fma_f64 v[16:17], v[10:11], s[24:25], v[16:17]
	v_add_f64 v[18:19], v[20:21], v[18:19]
	;; [unrolled: 2-line block ×3, first 2 shown]
	v_add_f64 v[6:7], v[28:29], v[26:27]
	v_add_f64 v[10:11], v[24:25], v[22:23]
	v_add_f64 v[22:23], v[22:23], -v[24:25]
	v_add_f64 v[26:27], v[26:27], -v[28:29]
	v_add_f64 v[24:25], v[30:31], v[36:37]
	v_add_f64 v[20:21], v[32:33], v[34:35]
	v_add_f64 v[14:15], v[18:19], -v[16:17]
	v_add_f64 v[18:19], v[16:17], v[18:19]
	v_add_f64 v[16:17], v[4:5], -v[8:9]
	;; [unrolled: 2-line block ×3, first 2 shown]
	v_add_f64 v[4:5], v[36:37], -v[30:31]
	ds_write_b128 v62, v[0:3] offset:3584
	ds_write_b128 v62, v[24:27] offset:7680
	;; [unrolled: 1-line block ×7, first 2 shown]
.LBB0_23:
	s_or_b64 exec, exec, s[28:29]
	s_waitcnt lgkmcnt(0)
	s_barrier
	s_and_saveexec_b64 s[2:3], s[0:1]
	s_cbranch_execz .LBB0_25
; %bb.24:
	v_mul_lo_u32 v0, s5, v58
	v_mul_lo_u32 v1, s4, v59
	v_mad_u64_u32 v[4:5], s[0:1], s4, v58, 0
	v_mov_b32_e32 v6, s11
	v_lshl_add_u32 v10, v60, 4, 0
	v_add3_u32 v5, v5, v1, v0
	v_lshlrev_b64 v[4:5], 4, v[4:5]
	v_mov_b32_e32 v61, 0
	v_add_co_u32_e32 v7, vcc, s10, v4
	v_addc_co_u32_e32 v6, vcc, v6, v5, vcc
	v_lshlrev_b64 v[4:5], 4, v[56:57]
	ds_read_b128 v[0:3], v10
	v_add_co_u32_e32 v11, vcc, v7, v4
	v_addc_co_u32_e32 v12, vcc, v6, v5, vcc
	v_lshlrev_b64 v[4:5], 4, v[60:61]
	v_add_co_u32_e32 v8, vcc, v11, v4
	v_addc_co_u32_e32 v9, vcc, v12, v5, vcc
	ds_read_b128 v[4:7], v10 offset:3584
	s_waitcnt lgkmcnt(1)
	global_store_dwordx4 v[8:9], v[0:3], off
	s_nop 0
	v_add_u32_e32 v0, 0xe0, v60
	v_mov_b32_e32 v1, v61
	v_lshlrev_b64 v[0:1], 4, v[0:1]
	v_add_co_u32_e32 v0, vcc, v11, v0
	v_addc_co_u32_e32 v1, vcc, v12, v1, vcc
	s_waitcnt lgkmcnt(0)
	global_store_dwordx4 v[0:1], v[4:7], off
	ds_read_b128 v[0:3], v10 offset:7168
	v_add_u32_e32 v4, 0x1c0, v60
	v_mov_b32_e32 v5, v61
	v_lshlrev_b64 v[4:5], 4, v[4:5]
	v_add_co_u32_e32 v8, vcc, v11, v4
	v_addc_co_u32_e32 v9, vcc, v12, v5, vcc
	ds_read_b128 v[4:7], v10 offset:10752
	s_waitcnt lgkmcnt(1)
	global_store_dwordx4 v[8:9], v[0:3], off
	s_nop 0
	v_add_u32_e32 v0, 0x2a0, v60
	v_mov_b32_e32 v1, v61
	v_lshlrev_b64 v[0:1], 4, v[0:1]
	v_add_co_u32_e32 v0, vcc, v11, v0
	v_addc_co_u32_e32 v1, vcc, v12, v1, vcc
	s_waitcnt lgkmcnt(0)
	global_store_dwordx4 v[0:1], v[4:7], off
	ds_read_b128 v[0:3], v10 offset:14336
	v_add_u32_e32 v4, 0x380, v60
	v_mov_b32_e32 v5, v61
	;; [unrolled: 17-line block ×3, first 2 shown]
	v_lshlrev_b64 v[4:5], 4, v[4:5]
	v_add_u32_e32 v60, 0x620, v60
	v_add_co_u32_e32 v8, vcc, v11, v4
	v_addc_co_u32_e32 v9, vcc, v12, v5, vcc
	ds_read_b128 v[4:7], v10 offset:25088
	s_waitcnt lgkmcnt(1)
	global_store_dwordx4 v[8:9], v[0:3], off
	s_nop 0
	v_lshlrev_b64 v[0:1], 4, v[60:61]
	v_add_co_u32_e32 v0, vcc, v11, v0
	v_addc_co_u32_e32 v1, vcc, v12, v1, vcc
	s_waitcnt lgkmcnt(0)
	global_store_dwordx4 v[0:1], v[4:7], off
.LBB0_25:
	s_endpgm
	.section	.rodata,"a",@progbits
	.p2align	6, 0x0
	.amdhsa_kernel fft_rtc_fwd_len1792_factors_4_4_4_4_7_wgs_224_tpt_224_halfLds_dp_op_CI_CI_unitstride_sbrr_C2R_dirReg
		.amdhsa_group_segment_fixed_size 0
		.amdhsa_private_segment_fixed_size 0
		.amdhsa_kernarg_size 104
		.amdhsa_user_sgpr_count 6
		.amdhsa_user_sgpr_private_segment_buffer 1
		.amdhsa_user_sgpr_dispatch_ptr 0
		.amdhsa_user_sgpr_queue_ptr 0
		.amdhsa_user_sgpr_kernarg_segment_ptr 1
		.amdhsa_user_sgpr_dispatch_id 0
		.amdhsa_user_sgpr_flat_scratch_init 0
		.amdhsa_user_sgpr_private_segment_size 0
		.amdhsa_uses_dynamic_stack 0
		.amdhsa_system_sgpr_private_segment_wavefront_offset 0
		.amdhsa_system_sgpr_workgroup_id_x 1
		.amdhsa_system_sgpr_workgroup_id_y 0
		.amdhsa_system_sgpr_workgroup_id_z 0
		.amdhsa_system_sgpr_workgroup_info 0
		.amdhsa_system_vgpr_workitem_id 0
		.amdhsa_next_free_vgpr 99
		.amdhsa_next_free_sgpr 30
		.amdhsa_reserve_vcc 1
		.amdhsa_reserve_flat_scratch 0
		.amdhsa_float_round_mode_32 0
		.amdhsa_float_round_mode_16_64 0
		.amdhsa_float_denorm_mode_32 3
		.amdhsa_float_denorm_mode_16_64 3
		.amdhsa_dx10_clamp 1
		.amdhsa_ieee_mode 1
		.amdhsa_fp16_overflow 0
		.amdhsa_exception_fp_ieee_invalid_op 0
		.amdhsa_exception_fp_denorm_src 0
		.amdhsa_exception_fp_ieee_div_zero 0
		.amdhsa_exception_fp_ieee_overflow 0
		.amdhsa_exception_fp_ieee_underflow 0
		.amdhsa_exception_fp_ieee_inexact 0
		.amdhsa_exception_int_div_zero 0
	.end_amdhsa_kernel
	.text
.Lfunc_end0:
	.size	fft_rtc_fwd_len1792_factors_4_4_4_4_7_wgs_224_tpt_224_halfLds_dp_op_CI_CI_unitstride_sbrr_C2R_dirReg, .Lfunc_end0-fft_rtc_fwd_len1792_factors_4_4_4_4_7_wgs_224_tpt_224_halfLds_dp_op_CI_CI_unitstride_sbrr_C2R_dirReg
                                        ; -- End function
	.section	.AMDGPU.csdata,"",@progbits
; Kernel info:
; codeLenInByte = 7660
; NumSgprs: 34
; NumVgprs: 99
; ScratchSize: 0
; MemoryBound: 0
; FloatMode: 240
; IeeeMode: 1
; LDSByteSize: 0 bytes/workgroup (compile time only)
; SGPRBlocks: 4
; VGPRBlocks: 24
; NumSGPRsForWavesPerEU: 34
; NumVGPRsForWavesPerEU: 99
; Occupancy: 2
; WaveLimiterHint : 1
; COMPUTE_PGM_RSRC2:SCRATCH_EN: 0
; COMPUTE_PGM_RSRC2:USER_SGPR: 6
; COMPUTE_PGM_RSRC2:TRAP_HANDLER: 0
; COMPUTE_PGM_RSRC2:TGID_X_EN: 1
; COMPUTE_PGM_RSRC2:TGID_Y_EN: 0
; COMPUTE_PGM_RSRC2:TGID_Z_EN: 0
; COMPUTE_PGM_RSRC2:TIDIG_COMP_CNT: 0
	.type	__hip_cuid_4accff7f38d677da,@object ; @__hip_cuid_4accff7f38d677da
	.section	.bss,"aw",@nobits
	.globl	__hip_cuid_4accff7f38d677da
__hip_cuid_4accff7f38d677da:
	.byte	0                               ; 0x0
	.size	__hip_cuid_4accff7f38d677da, 1

	.ident	"AMD clang version 19.0.0git (https://github.com/RadeonOpenCompute/llvm-project roc-6.4.0 25133 c7fe45cf4b819c5991fe208aaa96edf142730f1d)"
	.section	".note.GNU-stack","",@progbits
	.addrsig
	.addrsig_sym __hip_cuid_4accff7f38d677da
	.amdgpu_metadata
---
amdhsa.kernels:
  - .args:
      - .actual_access:  read_only
        .address_space:  global
        .offset:         0
        .size:           8
        .value_kind:     global_buffer
      - .offset:         8
        .size:           8
        .value_kind:     by_value
      - .actual_access:  read_only
        .address_space:  global
        .offset:         16
        .size:           8
        .value_kind:     global_buffer
      - .actual_access:  read_only
        .address_space:  global
        .offset:         24
        .size:           8
        .value_kind:     global_buffer
      - .actual_access:  read_only
        .address_space:  global
        .offset:         32
        .size:           8
        .value_kind:     global_buffer
      - .offset:         40
        .size:           8
        .value_kind:     by_value
      - .actual_access:  read_only
        .address_space:  global
        .offset:         48
        .size:           8
        .value_kind:     global_buffer
      - .actual_access:  read_only
        .address_space:  global
        .offset:         56
        .size:           8
        .value_kind:     global_buffer
      - .offset:         64
        .size:           4
        .value_kind:     by_value
      - .actual_access:  read_only
        .address_space:  global
        .offset:         72
        .size:           8
        .value_kind:     global_buffer
      - .actual_access:  read_only
        .address_space:  global
        .offset:         80
        .size:           8
        .value_kind:     global_buffer
      - .actual_access:  read_only
        .address_space:  global
        .offset:         88
        .size:           8
        .value_kind:     global_buffer
      - .actual_access:  write_only
        .address_space:  global
        .offset:         96
        .size:           8
        .value_kind:     global_buffer
    .group_segment_fixed_size: 0
    .kernarg_segment_align: 8
    .kernarg_segment_size: 104
    .language:       OpenCL C
    .language_version:
      - 2
      - 0
    .max_flat_workgroup_size: 224
    .name:           fft_rtc_fwd_len1792_factors_4_4_4_4_7_wgs_224_tpt_224_halfLds_dp_op_CI_CI_unitstride_sbrr_C2R_dirReg
    .private_segment_fixed_size: 0
    .sgpr_count:     34
    .sgpr_spill_count: 0
    .symbol:         fft_rtc_fwd_len1792_factors_4_4_4_4_7_wgs_224_tpt_224_halfLds_dp_op_CI_CI_unitstride_sbrr_C2R_dirReg.kd
    .uniform_work_group_size: 1
    .uses_dynamic_stack: false
    .vgpr_count:     99
    .vgpr_spill_count: 0
    .wavefront_size: 64
amdhsa.target:   amdgcn-amd-amdhsa--gfx906
amdhsa.version:
  - 1
  - 2
...

	.end_amdgpu_metadata
